;; amdgpu-corpus repo=ROCm/rocFFT kind=compiled arch=gfx950 opt=O3
	.text
	.amdgcn_target "amdgcn-amd-amdhsa--gfx950"
	.amdhsa_code_object_version 6
	.protected	fft_rtc_back_len169_factors_13_13_wgs_156_tpt_13_sp_op_CI_CI_sbcc_dirReg_intrinsicReadWrite ; -- Begin function fft_rtc_back_len169_factors_13_13_wgs_156_tpt_13_sp_op_CI_CI_sbcc_dirReg_intrinsicReadWrite
	.globl	fft_rtc_back_len169_factors_13_13_wgs_156_tpt_13_sp_op_CI_CI_sbcc_dirReg_intrinsicReadWrite
	.p2align	8
	.type	fft_rtc_back_len169_factors_13_13_wgs_156_tpt_13_sp_op_CI_CI_sbcc_dirReg_intrinsicReadWrite,@function
fft_rtc_back_len169_factors_13_13_wgs_156_tpt_13_sp_op_CI_CI_sbcc_dirReg_intrinsicReadWrite: ; @fft_rtc_back_len169_factors_13_13_wgs_156_tpt_13_sp_op_CI_CI_sbcc_dirReg_intrinsicReadWrite
; %bb.0:
	s_load_dwordx4 s[16:19], s[0:1], 0x18
	s_load_dwordx2 s[26:27], s[0:1], 0x28
	s_mov_b32 s3, 0
	s_mov_b64 s[22:23], 0
	s_waitcnt lgkmcnt(0)
	s_load_dwordx2 s[24:25], s[16:17], 0x8
	s_waitcnt lgkmcnt(0)
	s_add_u32 s4, s24, -1
	s_addc_u32 s5, s25, -1
	s_add_u32 s6, 0, 0x55540000
	s_addc_u32 s7, 0, 0x55
	s_mul_hi_u32 s9, s6, -12
	s_add_i32 s7, s7, 0x15555500
	s_sub_i32 s9, s9, s6
	s_mul_i32 s12, s7, -12
	s_mul_i32 s8, s6, -12
	s_add_i32 s9, s9, s12
	s_mul_hi_u32 s10, s7, s8
	s_mul_i32 s11, s7, s8
	s_mul_i32 s13, s6, s9
	s_mul_hi_u32 s8, s6, s8
	s_mul_hi_u32 s12, s6, s9
	s_add_u32 s8, s8, s13
	s_addc_u32 s12, 0, s12
	s_add_u32 s8, s8, s11
	s_mul_hi_u32 s13, s7, s9
	s_addc_u32 s8, s12, s10
	s_addc_u32 s10, s13, 0
	s_mul_i32 s9, s7, s9
	s_add_u32 s8, s8, s9
	v_mov_b32_e32 v1, s8
	s_addc_u32 s9, 0, s10
	v_add_co_u32_e32 v1, vcc, s6, v1
	s_cmp_lg_u64 vcc, 0
	s_addc_u32 s6, s7, s9
	v_readfirstlane_b32 s9, v1
	s_mul_i32 s8, s4, s6
	s_mul_hi_u32 s10, s4, s9
	s_mul_hi_u32 s7, s4, s6
	s_add_u32 s8, s10, s8
	s_addc_u32 s7, 0, s7
	s_mul_hi_u32 s11, s5, s9
	s_mul_i32 s9, s5, s9
	s_add_u32 s8, s8, s9
	s_mul_hi_u32 s10, s5, s6
	s_addc_u32 s7, s7, s11
	s_addc_u32 s8, s10, 0
	s_mul_i32 s6, s5, s6
	s_add_u32 s6, s7, s6
	s_addc_u32 s7, 0, s8
	s_add_u32 s8, s6, 1
	s_addc_u32 s9, s7, 0
	s_add_u32 s10, s6, 2
	s_mul_i32 s12, s7, 12
	s_mul_hi_u32 s13, s6, 12
	s_addc_u32 s11, s7, 0
	s_add_i32 s13, s13, s12
	s_mul_i32 s12, s6, 12
	v_mov_b32_e32 v1, s12
	v_sub_co_u32_e32 v1, vcc, s4, v1
	s_cmp_lg_u64 vcc, 0
	s_subb_u32 s4, s5, s13
	v_subrev_co_u32_e32 v2, vcc, 12, v1
	s_cmp_lg_u64 vcc, 0
	s_subb_u32 s5, s4, 0
	v_readfirstlane_b32 s12, v2
	s_cmp_gt_u32 s12, 11
	s_cselect_b32 s12, -1, 0
	s_cmp_eq_u32 s5, 0
	s_cselect_b32 s5, s12, -1
	s_cmp_lg_u32 s5, 0
	s_cselect_b32 s5, s10, s8
	s_cselect_b32 s8, s11, s9
	v_readfirstlane_b32 s9, v1
	s_cmp_gt_u32 s9, 11
	s_cselect_b32 s9, -1, 0
	s_cmp_eq_u32 s4, 0
	s_cselect_b32 s4, s9, -1
	s_cmp_lg_u32 s4, 0
	s_cselect_b32 s5, s5, s6
	s_cselect_b32 s4, s8, s7
	s_add_u32 s28, s5, 1
	s_addc_u32 s29, s4, 0
	v_mov_b64_e32 v[2:3], s[28:29]
	v_cmp_lt_u64_e32 vcc, s[2:3], v[2:3]
	s_cbranch_vccnz .LBB0_2
; %bb.1:
	v_cvt_f32_u32_e32 v1, s28
	s_sub_i32 s4, 0, s28
	s_mov_b32 s23, s3
	v_rcp_iflag_f32_e32 v1, v1
	s_nop 0
	v_mul_f32_e32 v1, 0x4f7ffffe, v1
	v_cvt_u32_f32_e32 v1, v1
	s_nop 0
	v_readfirstlane_b32 s5, v1
	s_mul_i32 s4, s4, s5
	s_mul_hi_u32 s4, s5, s4
	s_add_i32 s5, s5, s4
	s_mul_hi_u32 s4, s2, s5
	s_mul_i32 s6, s4, s28
	s_sub_i32 s6, s2, s6
	s_add_i32 s5, s4, 1
	s_sub_i32 s7, s6, s28
	s_cmp_ge_u32 s6, s28
	s_cselect_b32 s4, s5, s4
	s_cselect_b32 s6, s7, s6
	s_add_i32 s5, s4, 1
	s_cmp_ge_u32 s6, s28
	s_cselect_b32 s22, s5, s4
.LBB0_2:
	s_load_dwordx4 s[4:7], s[0:1], 0x60
	s_load_dwordx4 s[12:15], s[18:19], 0x0
	;; [unrolled: 1-line block ×3, first 2 shown]
	s_load_dwordx2 s[20:21], s[0:1], 0x0
	s_load_dwordx2 s[34:35], s[0:1], 0x10
	s_mul_i32 s0, s22, s29
	s_mul_hi_u32 s1, s22, s28
	s_add_i32 s1, s1, s0
	s_mul_i32 s0, s22, s28
	s_sub_u32 s0, s2, s0
	s_subb_u32 s1, 0, s1
	s_mul_i32 s1, s1, 12
	s_waitcnt lgkmcnt(0)
	s_mul_hi_u32 s9, s0, 12
	s_add_i32 s31, s9, s1
	s_mul_i32 s30, s0, 12
	s_mul_i32 s0, s14, s31
	s_mul_hi_u32 s1, s14, s30
	s_add_i32 s0, s1, s0
	s_mul_i32 s1, s15, s30
	s_add_i32 s15, s0, s1
	s_mul_i32 s0, s10, s31
	s_mul_hi_u32 s1, s10, s30
	s_add_i32 s0, s1, s0
	s_mul_i32 s1, s11, s30
	s_add_i32 s11, s0, s1
	v_cmp_lt_u64_e64 s[0:1], s[34:35], 3
	s_mul_i32 s13, s14, s30
	s_mul_i32 s9, s10, s30
	s_and_b64 vcc, exec, s[0:1]
	s_cbranch_vccnz .LBB0_12
; %bb.3:
	s_add_u32 s36, s26, 16
	s_addc_u32 s37, s27, 0
	s_add_u32 s38, s18, 16
	s_addc_u32 s39, s19, 0
	;; [unrolled: 2-line block ×3, first 2 shown]
	s_mov_b64 s[40:41], 2
	s_mov_b32 s42, 0
	v_mov_b64_e32 v[2:3], s[34:35]
.LBB0_4:                                ; =>This Inner Loop Header: Depth=1
	s_load_dwordx2 s[44:45], s[16:17], 0x0
	s_waitcnt lgkmcnt(0)
	s_or_b64 s[0:1], s[22:23], s[44:45]
	s_mov_b32 s43, s1
	s_cmp_lg_u64 s[42:43], 0
	s_cbranch_scc0 .LBB0_9
; %bb.5:                                ;   in Loop: Header=BB0_4 Depth=1
	v_cvt_f32_u32_e32 v1, s44
	v_cvt_f32_u32_e32 v4, s45
	s_sub_u32 s0, 0, s44
	s_subb_u32 s1, 0, s45
	v_fmac_f32_e32 v1, 0x4f800000, v4
	v_rcp_f32_e32 v1, v1
	s_nop 0
	v_mul_f32_e32 v1, 0x5f7ffffc, v1
	v_mul_f32_e32 v4, 0x2f800000, v1
	v_trunc_f32_e32 v4, v4
	v_fmac_f32_e32 v1, 0xcf800000, v4
	v_cvt_u32_f32_e32 v4, v4
	v_cvt_u32_f32_e32 v1, v1
	v_readfirstlane_b32 s33, v4
	v_readfirstlane_b32 s43, v1
	s_mul_i32 s46, s0, s33
	s_mul_hi_u32 s48, s0, s43
	s_mul_i32 s47, s1, s43
	s_add_i32 s46, s48, s46
	s_mul_i32 s49, s0, s43
	s_add_i32 s46, s46, s47
	s_mul_hi_u32 s47, s43, s46
	s_mul_i32 s48, s43, s46
	s_mul_hi_u32 s43, s43, s49
	s_add_u32 s43, s43, s48
	s_addc_u32 s47, 0, s47
	s_mul_hi_u32 s50, s33, s49
	s_mul_i32 s49, s33, s49
	s_add_u32 s43, s43, s49
	s_mul_hi_u32 s48, s33, s46
	s_addc_u32 s43, s47, s50
	s_addc_u32 s47, s48, 0
	s_mul_i32 s46, s33, s46
	s_add_u32 s43, s43, s46
	s_addc_u32 s46, 0, s47
	v_add_co_u32_e32 v1, vcc, s43, v1
	s_cmp_lg_u64 vcc, 0
	s_addc_u32 s33, s33, s46
	v_readfirstlane_b32 s46, v1
	s_mul_i32 s43, s0, s33
	s_mul_hi_u32 s47, s0, s46
	s_add_i32 s43, s47, s43
	s_mul_i32 s1, s1, s46
	s_add_i32 s43, s43, s1
	s_mul_i32 s0, s0, s46
	s_mul_hi_u32 s47, s33, s0
	s_mul_i32 s48, s33, s0
	s_mul_i32 s50, s46, s43
	s_mul_hi_u32 s0, s46, s0
	s_mul_hi_u32 s49, s46, s43
	s_add_u32 s0, s0, s50
	s_addc_u32 s46, 0, s49
	s_add_u32 s0, s0, s48
	s_mul_hi_u32 s1, s33, s43
	s_addc_u32 s0, s46, s47
	s_addc_u32 s1, s1, 0
	s_mul_i32 s43, s33, s43
	s_add_u32 s0, s0, s43
	s_addc_u32 s1, 0, s1
	v_add_co_u32_e32 v1, vcc, s0, v1
	s_cmp_lg_u64 vcc, 0
	s_addc_u32 s0, s33, s1
	v_readfirstlane_b32 s43, v1
	s_mul_i32 s33, s22, s0
	s_mul_hi_u32 s46, s22, s43
	s_mul_hi_u32 s1, s22, s0
	s_add_u32 s33, s46, s33
	s_addc_u32 s1, 0, s1
	s_mul_hi_u32 s47, s23, s43
	s_mul_i32 s43, s23, s43
	s_add_u32 s33, s33, s43
	s_mul_hi_u32 s46, s23, s0
	s_addc_u32 s1, s1, s47
	s_addc_u32 s33, s46, 0
	s_mul_i32 s0, s23, s0
	s_add_u32 s43, s1, s0
	s_addc_u32 s33, 0, s33
	s_mul_i32 s0, s44, s33
	s_mul_hi_u32 s1, s44, s43
	s_add_i32 s0, s1, s0
	s_mul_i32 s1, s45, s43
	s_add_i32 s46, s0, s1
	s_mul_i32 s1, s44, s43
	v_mov_b32_e32 v1, s1
	s_sub_i32 s0, s23, s46
	v_sub_co_u32_e32 v1, vcc, s22, v1
	s_cmp_lg_u64 vcc, 0
	s_subb_u32 s47, s0, s45
	v_subrev_co_u32_e64 v4, s[0:1], s44, v1
	s_cmp_lg_u64 s[0:1], 0
	s_subb_u32 s0, s47, 0
	s_cmp_ge_u32 s0, s45
	v_readfirstlane_b32 s47, v4
	s_cselect_b32 s1, -1, 0
	s_cmp_ge_u32 s47, s44
	s_cselect_b32 s47, -1, 0
	s_cmp_eq_u32 s0, s45
	s_cselect_b32 s0, s47, s1
	s_add_u32 s1, s43, 1
	s_addc_u32 s47, s33, 0
	s_add_u32 s48, s43, 2
	s_addc_u32 s49, s33, 0
	s_cmp_lg_u32 s0, 0
	s_cselect_b32 s0, s48, s1
	s_cselect_b32 s1, s49, s47
	s_cmp_lg_u64 vcc, 0
	s_subb_u32 s46, s23, s46
	s_cmp_ge_u32 s46, s45
	v_readfirstlane_b32 s48, v1
	s_cselect_b32 s47, -1, 0
	s_cmp_ge_u32 s48, s44
	s_cselect_b32 s48, -1, 0
	s_cmp_eq_u32 s46, s45
	s_cselect_b32 s46, s48, s47
	s_cmp_lg_u32 s46, 0
	s_cselect_b32 s1, s1, s33
	s_cselect_b32 s0, s0, s43
	s_cbranch_execnz .LBB0_7
.LBB0_6:                                ;   in Loop: Header=BB0_4 Depth=1
	v_cvt_f32_u32_e32 v1, s44
	s_sub_i32 s0, 0, s44
	v_rcp_iflag_f32_e32 v1, v1
	s_nop 0
	v_mul_f32_e32 v1, 0x4f7ffffe, v1
	v_cvt_u32_f32_e32 v1, v1
	s_nop 0
	v_readfirstlane_b32 s1, v1
	s_mul_i32 s0, s0, s1
	s_mul_hi_u32 s0, s1, s0
	s_add_i32 s1, s1, s0
	s_mul_hi_u32 s0, s22, s1
	s_mul_i32 s33, s0, s44
	s_sub_i32 s33, s22, s33
	s_add_i32 s1, s0, 1
	s_sub_i32 s43, s33, s44
	s_cmp_ge_u32 s33, s44
	s_cselect_b32 s0, s1, s0
	s_cselect_b32 s33, s43, s33
	s_add_i32 s1, s0, 1
	s_cmp_ge_u32 s33, s44
	s_cselect_b32 s0, s1, s0
	s_mov_b32 s1, s42
.LBB0_7:                                ;   in Loop: Header=BB0_4 Depth=1
	s_mul_i32 s29, s44, s29
	s_mul_hi_u32 s33, s44, s28
	s_add_i32 s29, s33, s29
	s_mul_i32 s33, s45, s28
	s_add_i32 s29, s29, s33
	s_mul_i32 s33, s0, s45
	s_mul_hi_u32 s43, s0, s44
	s_load_dwordx2 s[46:47], s[38:39], 0x0
	s_add_i32 s33, s43, s33
	s_mul_i32 s43, s1, s44
	s_add_i32 s33, s33, s43
	s_mul_i32 s43, s0, s44
	s_sub_u32 s43, s22, s43
	s_subb_u32 s33, s23, s33
	s_waitcnt lgkmcnt(0)
	s_mul_i32 s22, s46, s33
	s_mul_hi_u32 s23, s46, s43
	s_mul_i32 s28, s44, s28
	s_add_i32 s44, s23, s22
	s_load_dwordx2 s[22:23], s[36:37], 0x0
	s_mul_i32 s45, s47, s43
	s_add_i32 s44, s44, s45
	s_mul_i32 s45, s46, s43
	s_add_u32 s13, s45, s13
	s_addc_u32 s15, s44, s15
	s_waitcnt lgkmcnt(0)
	s_mul_i32 s33, s22, s33
	s_mul_hi_u32 s44, s22, s43
	s_add_i32 s33, s44, s33
	s_mul_i32 s23, s23, s43
	s_add_i32 s33, s33, s23
	s_mul_i32 s22, s22, s43
	s_add_u32 s9, s22, s9
	s_addc_u32 s11, s33, s11
	s_add_u32 s40, s40, 1
	s_addc_u32 s41, s41, 0
	;; [unrolled: 2-line block ×4, first 2 shown]
	s_add_u32 s16, s16, 8
	v_cmp_ge_u64_e32 vcc, s[40:41], v[2:3]
	s_addc_u32 s17, s17, 0
	s_cbranch_vccnz .LBB0_10
; %bb.8:                                ;   in Loop: Header=BB0_4 Depth=1
	s_mov_b64 s[22:23], s[0:1]
	s_branch .LBB0_4
.LBB0_9:                                ;   in Loop: Header=BB0_4 Depth=1
                                        ; implicit-def: $sgpr0_sgpr1
	s_branch .LBB0_6
.LBB0_10:
	v_mov_b64_e32 v[2:3], s[28:29]
	v_cmp_lt_u64_e32 vcc, s[2:3], v[2:3]
	s_mov_b64 s[22:23], 0
	s_cbranch_vccnz .LBB0_12
; %bb.11:
	v_cvt_f32_u32_e32 v1, s28
	s_sub_i32 s0, 0, s28
	v_rcp_iflag_f32_e32 v1, v1
	s_nop 0
	v_mul_f32_e32 v1, 0x4f7ffffe, v1
	v_cvt_u32_f32_e32 v1, v1
	s_nop 0
	v_readfirstlane_b32 s1, v1
	s_mul_i32 s0, s0, s1
	s_mul_hi_u32 s0, s1, s0
	s_add_i32 s1, s1, s0
	s_mul_hi_u32 s0, s2, s1
	s_mul_i32 s3, s0, s28
	s_sub_i32 s2, s2, s3
	s_add_i32 s1, s0, 1
	s_sub_i32 s3, s2, s28
	s_cmp_ge_u32 s2, s28
	s_cselect_b32 s0, s1, s0
	s_cselect_b32 s2, s3, s2
	s_add_i32 s1, s0, 1
	s_cmp_ge_u32 s2, s28
	s_cselect_b32 s22, s1, s0
.LBB0_12:
	s_lshl_b64 s[0:1], s[34:35], 3
	s_add_u32 s2, s18, s0
	s_addc_u32 s3, s19, s1
	s_load_dwordx2 s[2:3], s[2:3], 0x0
	v_mul_u32_u24_e32 v1, 0x1556, v0
	v_lshrrev_b32_e32 v1, 16, v1
	v_mul_lo_u16_e32 v2, 12, v1
	v_sub_u16_e32 v2, v0, v2
	s_waitcnt lgkmcnt(0)
	s_mul_i32 s2, s2, s22
	s_add_u32 s2, s2, s13
	s_add_u32 s60, s26, s0
	s_addc_u32 s61, s27, s1
	s_mov_b32 s0, 0
	v_mov_b32_e32 v3, s0
	s_add_u32 s0, s30, 12
	s_addc_u32 s1, s31, 0
	v_mov_b64_e32 v[4:5], s[24:25]
	v_cmp_le_u64_e32 vcc, s[0:1], v[4:5]
	v_mad_u64_u32 v[8:9], s[0:1], s14, v2, 0
	v_lshl_add_u64 v[4:5], s[30:31], 0, v[2:3]
	v_cmp_gt_u64_e64 s[0:1], s[24:25], v[4:5]
	s_or_b64 s[54:55], vcc, s[0:1]
	v_mov_b32_e32 v6, 0
	v_mov_b32_e32 v4, 0
	;; [unrolled: 1-line block ×3, first 2 shown]
	s_and_saveexec_b64 s[0:1], s[54:55]
	s_cbranch_execz .LBB0_14
; %bb.13:
	v_mul_lo_u32 v3, s12, v1
	v_add3_u32 v4, s2, v8, v3
	v_mov_b32_e32 v5, 0
	v_lshl_add_u64 v[4:5], v[4:5], 3, s[4:5]
	global_load_dwordx2 v[4:5], v[4:5], off
.LBB0_14:
	s_or_b64 exec, exec, s[0:1]
	v_mov_b32_e32 v7, 0
	s_and_saveexec_b64 s[0:1], s[54:55]
	s_cbranch_execz .LBB0_16
; %bb.15:
	v_add_u32_e32 v3, 13, v1
	v_mul_lo_u32 v3, s12, v3
	v_add3_u32 v6, s2, v8, v3
	v_mov_b32_e32 v7, 0
	v_lshl_add_u64 v[6:7], v[6:7], 3, s[4:5]
	global_load_dwordx2 v[6:7], v[6:7], off
.LBB0_16:
	s_or_b64 exec, exec, s[0:1]
	v_mov_b32_e32 v18, 0
	v_mov_b32_e32 v20, 0
	v_mov_b32_e32 v21, 0
	s_and_saveexec_b64 s[0:1], s[54:55]
	s_cbranch_execz .LBB0_18
; %bb.17:
	v_add_u32_e32 v3, 26, v1
	v_mul_lo_u32 v3, s12, v3
	v_add3_u32 v10, s2, v8, v3
	v_mov_b32_e32 v11, 0
	v_lshl_add_u64 v[10:11], v[10:11], 3, s[4:5]
	global_load_dwordx2 v[20:21], v[10:11], off
.LBB0_18:
	s_or_b64 exec, exec, s[0:1]
	v_mov_b32_e32 v19, 0
	s_and_saveexec_b64 s[0:1], s[54:55]
	s_cbranch_execz .LBB0_20
; %bb.19:
	v_add_u32_e32 v3, 39, v1
	v_mul_lo_u32 v3, s12, v3
	v_add3_u32 v10, s2, v8, v3
	v_mov_b32_e32 v11, 0
	v_lshl_add_u64 v[10:11], v[10:11], 3, s[4:5]
	global_load_dwordx2 v[18:19], v[10:11], off
.LBB0_20:
	s_or_b64 exec, exec, s[0:1]
	v_mov_b32_e32 v22, 0
	v_mov_b32_e32 v24, 0
	v_mov_b32_e32 v25, 0
	s_and_saveexec_b64 s[0:1], s[54:55]
	s_cbranch_execz .LBB0_22
; %bb.21:
	v_add_u32_e32 v3, 52, v1
	v_mul_lo_u32 v3, s12, v3
	v_add3_u32 v10, s2, v8, v3
	v_mov_b32_e32 v11, 0
	v_lshl_add_u64 v[10:11], v[10:11], 3, s[4:5]
	global_load_dwordx2 v[24:25], v[10:11], off
.LBB0_22:
	s_or_b64 exec, exec, s[0:1]
	v_mov_b32_e32 v23, 0
	s_and_saveexec_b64 s[0:1], s[54:55]
	s_cbranch_execz .LBB0_24
; %bb.23:
	v_add_u32_e32 v3, 0x41, v1
	v_mul_lo_u32 v3, s12, v3
	v_add3_u32 v10, s2, v8, v3
	v_mov_b32_e32 v11, 0
	v_lshl_add_u64 v[10:11], v[10:11], 3, s[4:5]
	global_load_dwordx2 v[22:23], v[10:11], off
.LBB0_24:
	s_or_b64 exec, exec, s[0:1]
	v_mov_b32_e32 v26, 0
	v_mov_b32_e32 v28, 0
	v_mov_b32_e32 v29, 0
	s_and_saveexec_b64 s[0:1], s[54:55]
	s_cbranch_execz .LBB0_26
; %bb.25:
	v_add_u32_e32 v3, 0x4e, v1
	v_mul_lo_u32 v3, s12, v3
	v_add3_u32 v10, s2, v8, v3
	v_mov_b32_e32 v11, 0
	v_lshl_add_u64 v[10:11], v[10:11], 3, s[4:5]
	global_load_dwordx2 v[28:29], v[10:11], off
.LBB0_26:
	s_or_b64 exec, exec, s[0:1]
	v_mov_b32_e32 v27, 0
	s_and_saveexec_b64 s[0:1], s[54:55]
	s_cbranch_execz .LBB0_28
; %bb.27:
	v_add_u32_e32 v3, 0x5b, v1
	v_mul_lo_u32 v3, s12, v3
	v_add3_u32 v10, s2, v8, v3
	v_mov_b32_e32 v11, 0
	v_lshl_add_u64 v[10:11], v[10:11], 3, s[4:5]
	global_load_dwordx2 v[26:27], v[10:11], off
.LBB0_28:
	s_or_b64 exec, exec, s[0:1]
	v_mov_b32_e32 v30, 0
	v_mov_b32_e32 v32, 0
	v_mov_b32_e32 v33, 0
	s_and_saveexec_b64 s[0:1], s[54:55]
	s_cbranch_execz .LBB0_30
; %bb.29:
	v_add_u32_e32 v3, 0x68, v1
	v_mul_lo_u32 v3, s12, v3
	v_add3_u32 v10, s2, v8, v3
	v_mov_b32_e32 v11, 0
	v_lshl_add_u64 v[10:11], v[10:11], 3, s[4:5]
	global_load_dwordx2 v[32:33], v[10:11], off
.LBB0_30:
	s_or_b64 exec, exec, s[0:1]
	v_mov_b32_e32 v31, 0
	s_and_saveexec_b64 s[0:1], s[54:55]
	s_cbranch_execz .LBB0_32
; %bb.31:
	v_add_u32_e32 v3, 0x75, v1
	v_mul_lo_u32 v3, s12, v3
	v_add3_u32 v10, s2, v8, v3
	v_mov_b32_e32 v11, 0
	v_lshl_add_u64 v[10:11], v[10:11], 3, s[4:5]
	global_load_dwordx2 v[30:31], v[10:11], off
.LBB0_32:
	s_or_b64 exec, exec, s[0:1]
	v_mov_b32_e32 v34, 0
	v_mov_b32_e32 v36, 0
	v_mov_b32_e32 v37, 0
	s_and_saveexec_b64 s[0:1], s[54:55]
	s_cbranch_execz .LBB0_34
; %bb.33:
	v_add_u32_e32 v3, 0x82, v1
	v_mul_lo_u32 v3, s12, v3
	v_add3_u32 v10, s2, v8, v3
	v_mov_b32_e32 v11, 0
	v_lshl_add_u64 v[10:11], v[10:11], 3, s[4:5]
	global_load_dwordx2 v[36:37], v[10:11], off
.LBB0_34:
	s_or_b64 exec, exec, s[0:1]
	v_mov_b32_e32 v35, 0
	s_and_saveexec_b64 s[0:1], s[54:55]
	s_cbranch_execz .LBB0_36
; %bb.35:
	v_add_u32_e32 v3, 0x8f, v1
	v_mul_lo_u32 v3, s12, v3
	v_add3_u32 v10, s2, v8, v3
	v_mov_b32_e32 v11, 0
	v_lshl_add_u64 v[10:11], v[10:11], 3, s[4:5]
	global_load_dwordx2 v[34:35], v[10:11], off
.LBB0_36:
	s_or_b64 exec, exec, s[0:1]
	v_mov_b32_e32 v38, 0
	v_mov_b32_e32 v39, 0
	s_and_saveexec_b64 s[0:1], s[54:55]
	s_cbranch_execz .LBB0_38
; %bb.37:
	v_add_u32_e32 v3, 0x9c, v1
	v_mul_lo_u32 v3, s12, v3
	v_add3_u32 v8, s2, v8, v3
	v_mov_b32_e32 v9, 0
	v_lshl_add_u64 v[8:9], v[8:9], 3, s[4:5]
	global_load_dwordx2 v[38:39], v[8:9], off
.LBB0_38:
	s_or_b64 exec, exec, s[0:1]
	s_waitcnt vmcnt(0)
	v_pk_add_f32 v[40:41], v[4:5], v[6:7]
	v_pk_add_f32 v[14:15], v[20:21], v[34:35]
	v_pk_add_f32 v[44:45], v[20:21], v[34:35] neg_lo:[0,1] neg_hi:[0,1]
	v_pk_add_f32 v[20:21], v[40:41], v[20:21]
	v_pk_add_f32 v[12:13], v[18:19], v[36:37]
	v_pk_add_f32 v[46:47], v[18:19], v[36:37] neg_lo:[0,1] neg_hi:[0,1]
	v_pk_add_f32 v[18:19], v[20:21], v[18:19]
	v_pk_add_f32 v[16:17], v[6:7], v[38:39]
	;; [unrolled: 1-line block ×3, first 2 shown]
	v_pk_add_f32 v[42:43], v[6:7], v[38:39] neg_lo:[0,1] neg_hi:[0,1]
	v_pk_add_f32 v[18:19], v[18:19], v[22:23]
	s_mov_b32 s50, 0xbeedf032
	v_pk_add_f32 v[18:19], v[18:19], v[28:29]
	v_mov_b32_e32 v66, v43
	v_pk_add_f32 v[18:19], v[18:19], v[26:27]
	v_mov_b32_e32 v67, v17
	v_pk_add_f32 v[18:19], v[18:19], v[32:33]
	s_mov_b32 s51, 0x3f62ad3f
	v_pk_add_f32 v[18:19], v[18:19], v[30:31]
	v_mov_b32_e32 v17, v42
	v_pk_add_f32 v[18:19], v[18:19], v[36:37]
	s_mov_b32 s56, s51
	v_pk_add_f32 v[18:19], v[18:19], v[34:35]
	s_mov_b32 s57, s50
	v_pk_add_f32 v[54:55], v[18:19], v[38:39]
	v_pk_mul_f32 v[18:19], v[66:67], s[50:51]
	v_pk_add_f32 v[8:9], v[22:23], v[32:33]
	v_pk_add_f32 v[50:51], v[22:23], v[32:33] neg_lo:[0,1] neg_hi:[0,1]
	v_pk_fma_f32 v[20:21], v[16:17], s[56:57], v[18:19]
	v_pk_fma_f32 v[22:23], v[16:17], s[56:57], v[18:19] neg_lo:[1,0,0] neg_hi:[1,0,0]
	s_mov_b32 s4, 0xbf52af12
	v_mov_b32_e32 v22, v20
	v_mov_b32_e32 v68, v45
	;; [unrolled: 1-line block ×3, first 2 shown]
	s_mov_b32 s5, 0x3f116cb1
	v_pk_add_f32 v[6:7], v[28:29], v[26:27]
	v_pk_add_f32 v[52:53], v[28:29], v[26:27] neg_lo:[0,1] neg_hi:[0,1]
	v_pk_add_f32 v[26:27], v[4:5], v[22:23]
	v_pk_mul_f32 v[22:23], v[68:69], s[4:5]
	v_mov_b32_e32 v15, v44
	s_mov_b32 s24, s5
	s_mov_b32 s25, s4
	v_pk_add_f32 v[10:11], v[24:25], v[30:31]
	v_pk_add_f32 v[48:49], v[24:25], v[30:31] neg_lo:[0,1] neg_hi:[0,1]
	v_pk_fma_f32 v[24:25], v[14:15], s[24:25], v[22:23]
	v_pk_fma_f32 v[28:29], v[14:15], s[24:25], v[22:23] neg_lo:[1,0,0] neg_hi:[1,0,0]
	s_mov_b32 s30, 0xbf7e222b
	v_mov_b32_e32 v28, v24
	v_mov_b32_e32 v70, v47
	v_mov_b32_e32 v71, v13
	s_mov_b32 s31, 0x3df6dbef
	s_movk_i32 s0, 0x4e0
	v_pk_add_f32 v[30:31], v[28:29], v[26:27]
	v_pk_mul_f32 v[26:27], v[70:71], s[30:31]
	v_mov_b32_e32 v13, v46
	s_mov_b32 s38, s31
	s_mov_b32 s39, s30
	v_mad_u32_u24 v3, v1, s0, 0
	v_pk_fma_f32 v[28:29], v[12:13], s[38:39], v[26:27]
	v_pk_fma_f32 v[32:33], v[12:13], s[38:39], v[26:27] neg_lo:[1,0,0] neg_hi:[1,0,0]
	s_mov_b32 s0, 0xbf6f5d39
	v_mov_b32_e32 v32, v28
	v_mov_b32_e32 v72, v49
	v_mov_b32_e32 v73, v11
	s_mov_b32 s1, 0xbeb58ec6
	v_pk_add_f32 v[34:35], v[32:33], v[30:31]
	v_pk_mul_f32 v[30:31], v[72:73], s[0:1]
	v_mov_b32_e32 v11, v48
	s_mov_b32 s14, s1
	s_mov_b32 s15, s0
	v_pk_fma_f32 v[32:33], v[10:11], s[14:15], v[30:31]
	v_pk_fma_f32 v[36:37], v[10:11], s[14:15], v[30:31] neg_lo:[1,0,0] neg_hi:[1,0,0]
	s_mov_b32 s2, 0xbf29c268
	v_mov_b32_e32 v36, v32
	v_mov_b32_e32 v74, v51
	v_mov_b32_e32 v75, v9
	s_mov_b32 s3, 0xbf3f9e67
	v_pk_add_f32 v[38:39], v[36:37], v[34:35]
	v_pk_mul_f32 v[34:35], v[74:75], s[2:3]
	v_mov_b32_e32 v9, v50
	s_mov_b32 s16, s3
	s_mov_b32 s17, s2
	v_pk_fma_f32 v[36:37], v[8:9], s[16:17], v[34:35]
	v_pk_fma_f32 v[40:41], v[8:9], s[16:17], v[34:35] neg_lo:[1,0,0] neg_hi:[1,0,0]
	s_mov_b32 s12, 0xbe750f2a
	v_mov_b32_e32 v40, v36
	v_mov_b32_e32 v76, v53
	v_mov_b32_e32 v77, v7
	s_mov_b32 s13, 0xbf788fa5
	v_pk_add_f32 v[42:43], v[40:41], v[38:39]
	v_pk_mul_f32 v[38:39], v[76:77], s[12:13]
	v_mov_b32_e32 v7, v52
	s_mov_b32 s18, s13
	s_mov_b32 s19, s12
	v_pk_fma_f32 v[40:41], v[6:7], s[18:19], v[38:39]
	v_pk_fma_f32 v[44:45], v[6:7], s[18:19], v[38:39] neg_lo:[1,0,0] neg_hi:[1,0,0]
	v_lshl_add_u32 v20, v2, 3, v3
	v_mov_b32_e32 v44, v40
	v_pk_add_f32 v[42:43], v[44:45], v[42:43]
	v_pk_mul_f32 v[44:45], v[66:67], s[4:5]
	ds_write2_b64 v20, v[54:55], v[42:43] offset1:12
	v_pk_fma_f32 v[42:43], v[16:17], s[24:25], v[44:45]
	v_pk_fma_f32 v[46:47], v[16:17], s[24:25], v[44:45] neg_lo:[1,0,0] neg_hi:[1,0,0]
	v_pk_mul_f32 v[48:49], v[68:69], s[0:1]
	v_mov_b32_e32 v46, v42
	v_pk_add_f32 v[50:51], v[4:5], v[46:47]
	v_pk_fma_f32 v[46:47], v[14:15], s[14:15], v[48:49]
	v_pk_fma_f32 v[52:53], v[14:15], s[14:15], v[48:49] neg_lo:[1,0,0] neg_hi:[1,0,0]
	s_mov_b32 s42, 0x3f29c268
	v_mov_b32_e32 v52, v46
	v_pk_add_f32 v[54:55], v[52:53], v[50:51]
	v_pk_mul_f32 v[52:53], v[70:71], s[12:13]
	s_mov_b32 s43, s3
	v_pk_fma_f32 v[50:51], v[12:13], s[18:19], v[52:53]
	v_pk_fma_f32 v[56:57], v[12:13], s[18:19], v[52:53] neg_lo:[1,0,0] neg_hi:[1,0,0]
	s_mov_b32 s44, s3
	v_mov_b32_e32 v56, v50
	v_pk_add_f32 v[58:59], v[56:57], v[54:55]
	s_mov_b32 s45, s42
	v_pk_mul_f32 v[56:57], v[72:73], s[42:43]
	s_mov_b32 s26, 0x3f7e222b
	v_pk_fma_f32 v[54:55], v[10:11], s[44:45], v[56:57]
	v_pk_fma_f32 v[60:61], v[10:11], s[44:45], v[56:57] neg_lo:[1,0,0] neg_hi:[1,0,0]
	s_mov_b32 s27, s31
	v_mov_b32_e32 v60, v54
	v_pk_add_f32 v[62:63], v[60:61], v[58:59]
	s_mov_b32 s36, s31
	s_mov_b32 s37, s26
	v_pk_mul_f32 v[60:61], v[74:75], s[26:27]
	s_mov_b32 s28, 0x3eedf032
	v_pk_fma_f32 v[58:59], v[8:9], s[36:37], v[60:61]
	v_pk_fma_f32 v[64:65], v[8:9], s[36:37], v[60:61] neg_lo:[1,0,0] neg_hi:[1,0,0]
	s_mov_b32 s29, s51
	v_mov_b32_e32 v64, v58
	v_pk_add_f32 v[78:79], v[64:65], v[62:63]
	s_mov_b32 s34, s51
	s_mov_b32 s35, s28
	v_pk_mul_f32 v[64:65], v[76:77], s[28:29]
	v_pk_mul_f32 v[86:87], v[68:69], s[12:13]
	v_pk_fma_f32 v[62:63], v[6:7], s[34:35], v[64:65]
	v_pk_fma_f32 v[80:81], v[6:7], s[34:35], v[64:65] neg_lo:[1,0,0] neg_hi:[1,0,0]
	v_pk_fma_f32 v[88:89], v[14:15], s[18:19], v[86:87]
	v_mov_b32_e32 v80, v62
	v_pk_add_f32 v[78:79], v[80:81], v[78:79]
	v_pk_mul_f32 v[80:81], v[66:67], s[30:31]
	v_pk_fma_f32 v[90:91], v[14:15], s[18:19], v[86:87] neg_lo:[1,0,0] neg_hi:[1,0,0]
	v_pk_fma_f32 v[82:83], v[16:17], s[38:39], v[80:81]
	v_pk_fma_f32 v[84:85], v[16:17], s[38:39], v[80:81] neg_lo:[1,0,0] neg_hi:[1,0,0]
	v_mov_b32_e32 v90, v88
	v_mov_b32_e32 v84, v82
	v_pk_add_f32 v[84:85], v[4:5], v[84:85]
	s_mov_b32 s58, 0x3f6f5d39
	s_mov_b32 s59, s1
	v_pk_add_f32 v[84:85], v[90:91], v[84:85]
	s_mov_b32 s62, s1
	s_mov_b32 s63, s58
	v_pk_mul_f32 v[90:91], v[70:71], s[58:59]
	v_pk_mul_f32 v[108:109], v[68:69], s[42:43]
	v_pk_fma_f32 v[92:93], v[12:13], s[62:63], v[90:91]
	v_pk_fma_f32 v[94:95], v[12:13], s[62:63], v[90:91] neg_lo:[1,0,0] neg_hi:[1,0,0]
	v_pk_fma_f32 v[110:111], v[14:15], s[44:45], v[108:109]
	v_mov_b32_e32 v94, v92
	v_pk_add_f32 v[84:85], v[94:95], v[84:85]
	v_pk_mul_f32 v[94:95], v[72:73], s[28:29]
	v_pk_fma_f32 v[112:113], v[14:15], s[44:45], v[108:109] neg_lo:[1,0,0] neg_hi:[1,0,0]
	v_pk_fma_f32 v[96:97], v[10:11], s[34:35], v[94:95]
	v_pk_fma_f32 v[98:99], v[10:11], s[34:35], v[94:95] neg_lo:[1,0,0] neg_hi:[1,0,0]
	v_mov_b32_e32 v112, v110
	v_mov_b32_e32 v98, v96
	v_pk_add_f32 v[84:85], v[98:99], v[84:85]
	v_pk_mul_f32 v[98:99], v[74:75], s[4:5]
	s_mov_b32 s48, 0x3e750f2a
	v_pk_fma_f32 v[100:101], v[8:9], s[24:25], v[98:99]
	v_pk_fma_f32 v[102:103], v[8:9], s[24:25], v[98:99] neg_lo:[1,0,0] neg_hi:[1,0,0]
	s_mov_b32 s49, s13
	v_mov_b32_e32 v102, v100
	v_pk_add_f32 v[84:85], v[102:103], v[84:85]
	v_pk_mul_f32 v[102:103], v[76:77], s[2:3]
	s_mov_b32 s52, s13
	v_pk_fma_f32 v[104:105], v[6:7], s[16:17], v[102:103]
	v_pk_fma_f32 v[106:107], v[6:7], s[16:17], v[102:103] neg_lo:[1,0,0] neg_hi:[1,0,0]
	s_mov_b32 s53, s48
	v_mov_b32_e32 v106, v104
	v_pk_add_f32 v[84:85], v[106:107], v[84:85]
	ds_write2_b64 v20, v[78:79], v[84:85] offset0:24 offset1:36
	v_pk_mul_f32 v[78:79], v[66:67], s[0:1]
	s_mov_b32 s40, 0x3f52af12
	v_pk_fma_f32 v[84:85], v[16:17], s[14:15], v[78:79]
	v_pk_fma_f32 v[106:107], v[16:17], s[14:15], v[78:79] neg_lo:[1,0,0] neg_hi:[1,0,0]
	s_mov_b32 s41, s5
	v_mov_b32_e32 v106, v84
	v_pk_add_f32 v[106:107], v[4:5], v[106:107]
	s_mov_b32 s46, s5
	v_pk_add_f32 v[106:107], v[112:113], v[106:107]
	v_pk_mul_f32 v[112:113], v[70:71], s[28:29]
	s_mov_b32 s47, s40
	v_pk_fma_f32 v[114:115], v[12:13], s[34:35], v[112:113]
	v_pk_fma_f32 v[116:117], v[12:13], s[34:35], v[112:113] neg_lo:[1,0,0] neg_hi:[1,0,0]
	v_pk_mul_f32 v[134:135], v[68:69], s[26:27]
	v_mov_b32_e32 v116, v114
	v_pk_add_f32 v[106:107], v[116:117], v[106:107]
	v_pk_mul_f32 v[116:117], v[72:73], s[30:31]
	v_pk_fma_f32 v[136:137], v[14:15], s[36:37], v[134:135]
	v_pk_fma_f32 v[118:119], v[10:11], s[38:39], v[116:117]
	v_pk_fma_f32 v[120:121], v[10:11], s[38:39], v[116:117] neg_lo:[1,0,0] neg_hi:[1,0,0]
	v_pk_fma_f32 v[138:139], v[14:15], s[36:37], v[134:135] neg_lo:[1,0,0] neg_hi:[1,0,0]
	v_mov_b32_e32 v120, v118
	v_pk_add_f32 v[106:107], v[120:121], v[106:107]
	v_pk_mul_f32 v[120:121], v[74:75], s[48:49]
	v_mov_b32_e32 v138, v136
	v_pk_fma_f32 v[122:123], v[8:9], s[52:53], v[120:121]
	v_pk_fma_f32 v[124:125], v[8:9], s[52:53], v[120:121] neg_lo:[1,0,0] neg_hi:[1,0,0]
	v_pk_mul_f32 v[68:69], v[68:69], s[28:29]
	v_mov_b32_e32 v124, v122
	v_pk_add_f32 v[106:107], v[124:125], v[106:107]
	v_pk_mul_f32 v[124:125], v[76:77], s[40:41]
	v_pk_fma_f32 v[156:157], v[14:15], s[34:35], v[68:69] neg_lo:[1,0,0] neg_hi:[1,0,0]
	v_pk_fma_f32 v[126:127], v[6:7], s[46:47], v[124:125]
	v_pk_fma_f32 v[128:129], v[6:7], s[46:47], v[124:125] neg_lo:[1,0,0] neg_hi:[1,0,0]
	v_pk_fma_f32 v[44:45], v[16:17], s[24:25], v[44:45] neg_lo:[0,0,1] neg_hi:[0,0,1]
	v_mov_b32_e32 v128, v126
	v_pk_add_f32 v[106:107], v[128:129], v[106:107]
	v_pk_mul_f32 v[128:129], v[66:67], s[2:3]
	v_pk_mul_f32 v[66:67], v[66:67], s[12:13]
	v_pk_fma_f32 v[130:131], v[16:17], s[16:17], v[128:129]
	v_pk_fma_f32 v[132:133], v[16:17], s[16:17], v[128:129] neg_lo:[1,0,0] neg_hi:[1,0,0]
	v_mov_b32_e32 v45, v43
	v_mov_b32_e32 v132, v130
	v_pk_add_f32 v[132:133], v[4:5], v[132:133]
	v_pk_fma_f32 v[42:43], v[14:15], s[14:15], v[48:49] neg_lo:[0,0,1] neg_hi:[0,0,1]
	v_pk_add_f32 v[132:133], v[138:139], v[132:133]
	v_pk_mul_f32 v[138:139], v[70:71], s[4:5]
	v_pk_mul_f32 v[70:71], v[70:71], s[2:3]
	v_pk_fma_f32 v[140:141], v[12:13], s[24:25], v[138:139]
	v_pk_fma_f32 v[142:143], v[12:13], s[24:25], v[138:139] neg_lo:[1,0,0] neg_hi:[1,0,0]
	v_pk_fma_f32 v[158:159], v[12:13], s[16:17], v[70:71] neg_lo:[1,0,0] neg_hi:[1,0,0]
	v_mov_b32_e32 v142, v140
	v_pk_add_f32 v[132:133], v[142:143], v[132:133]
	v_pk_mul_f32 v[142:143], v[72:73], s[48:49]
	v_pk_mul_f32 v[72:73], v[72:73], s[40:41]
	v_pk_fma_f32 v[144:145], v[10:11], s[52:53], v[142:143]
	v_pk_fma_f32 v[146:147], v[10:11], s[52:53], v[142:143] neg_lo:[1,0,0] neg_hi:[1,0,0]
	v_pk_fma_f32 v[160:161], v[10:11], s[46:47], v[72:73] neg_lo:[1,0,0] neg_hi:[1,0,0]
	v_mov_b32_e32 v146, v144
	;; [unrolled: 7-line block ×4, first 2 shown]
	v_pk_add_f32 v[132:133], v[154:155], v[132:133]
	ds_write2_b64 v20, v[106:107], v[132:133] offset0:48 offset1:60
	v_pk_fma_f32 v[106:107], v[16:17], s[18:19], v[66:67]
	v_pk_fma_f32 v[132:133], v[16:17], s[18:19], v[66:67] neg_lo:[1,0,0] neg_hi:[1,0,0]
	v_pk_fma_f32 v[66:67], v[16:17], s[18:19], v[66:67] neg_lo:[0,0,1] neg_hi:[0,0,1]
	v_mov_b32_e32 v132, v106
	v_pk_fma_f32 v[154:155], v[14:15], s[34:35], v[68:69]
	v_mov_b32_e32 v67, v107
	v_pk_fma_f32 v[68:69], v[14:15], s[34:35], v[68:69] neg_lo:[0,0,1] neg_hi:[0,0,1]
	v_pk_add_f32 v[132:133], v[4:5], v[132:133]
	v_mov_b32_e32 v156, v154
	v_mov_b32_e32 v69, v155
	v_pk_add_f32 v[66:67], v[4:5], v[66:67]
	v_pk_add_f32 v[132:133], v[156:157], v[132:133]
	v_pk_fma_f32 v[156:157], v[12:13], s[16:17], v[70:71]
	v_pk_add_f32 v[66:67], v[68:69], v[66:67]
	v_pk_fma_f32 v[68:69], v[12:13], s[16:17], v[70:71] neg_lo:[0,0,1] neg_hi:[0,0,1]
	v_mov_b32_e32 v158, v156
	v_mov_b32_e32 v69, v157
	v_pk_add_f32 v[132:133], v[158:159], v[132:133]
	v_pk_fma_f32 v[158:159], v[10:11], s[46:47], v[72:73]
	v_pk_add_f32 v[66:67], v[68:69], v[66:67]
	v_pk_fma_f32 v[68:69], v[10:11], s[46:47], v[72:73] neg_lo:[0,0,1] neg_hi:[0,0,1]
	v_mov_b32_e32 v160, v158
	v_mov_b32_e32 v69, v159
	;; [unrolled: 6-line block ×4, first 2 shown]
	v_pk_add_f32 v[132:133], v[164:165], v[132:133]
	v_pk_add_f32 v[66:67], v[68:69], v[66:67]
	ds_write2_b64 v20, v[132:133], v[66:67] offset0:72 offset1:84
	v_pk_fma_f32 v[66:67], v[16:17], s[16:17], v[128:129] neg_lo:[0,0,1] neg_hi:[0,0,1]
	v_pk_fma_f32 v[68:69], v[14:15], s[36:37], v[134:135] neg_lo:[0,0,1] neg_hi:[0,0,1]
	v_mov_b32_e32 v67, v131
	v_mov_b32_e32 v69, v137
	v_pk_add_f32 v[66:67], v[4:5], v[66:67]
	v_pk_fma_f32 v[70:71], v[14:15], s[44:45], v[108:109] neg_lo:[0,0,1] neg_hi:[0,0,1]
	v_pk_add_f32 v[66:67], v[68:69], v[66:67]
	v_pk_fma_f32 v[68:69], v[12:13], s[24:25], v[138:139] neg_lo:[0,0,1] neg_hi:[0,0,1]
	v_mov_b32_e32 v71, v111
	v_mov_b32_e32 v69, v141
	v_pk_add_f32 v[66:67], v[68:69], v[66:67]
	v_pk_fma_f32 v[68:69], v[10:11], s[52:53], v[142:143] neg_lo:[0,0,1] neg_hi:[0,0,1]
	v_mov_b32_e32 v43, v47
	v_mov_b32_e32 v69, v145
	v_pk_add_f32 v[66:67], v[68:69], v[66:67]
	v_pk_fma_f32 v[68:69], v[8:9], s[34:35], v[146:147] neg_lo:[0,0,1] neg_hi:[0,0,1]
	v_pk_add_f32 v[44:45], v[4:5], v[44:45]
	v_mov_b32_e32 v69, v149
	v_pk_add_f32 v[66:67], v[68:69], v[66:67]
	v_pk_fma_f32 v[68:69], v[6:7], s[14:15], v[150:151] neg_lo:[0,0,1] neg_hi:[0,0,1]
	v_pk_add_f32 v[42:43], v[42:43], v[44:45]
	v_mov_b32_e32 v69, v153
	v_pk_add_f32 v[66:67], v[68:69], v[66:67]
	v_pk_fma_f32 v[68:69], v[16:17], s[14:15], v[78:79] neg_lo:[0,0,1] neg_hi:[0,0,1]
	v_pk_fma_f32 v[44:45], v[12:13], s[18:19], v[52:53] neg_lo:[0,0,1] neg_hi:[0,0,1]
	v_mov_b32_e32 v69, v85
	v_pk_add_f32 v[68:69], v[4:5], v[68:69]
	v_mov_b32_e32 v45, v51
	v_pk_add_f32 v[68:69], v[70:71], v[68:69]
	v_pk_fma_f32 v[70:71], v[12:13], s[34:35], v[112:113] neg_lo:[0,0,1] neg_hi:[0,0,1]
	v_pk_add_f32 v[42:43], v[44:45], v[42:43]
	v_mov_b32_e32 v71, v115
	v_pk_add_f32 v[68:69], v[70:71], v[68:69]
	v_pk_fma_f32 v[70:71], v[10:11], s[38:39], v[116:117] neg_lo:[0,0,1] neg_hi:[0,0,1]
	v_pk_fma_f32 v[44:45], v[10:11], s[44:45], v[56:57] neg_lo:[0,0,1] neg_hi:[0,0,1]
	v_mov_b32_e32 v71, v119
	v_pk_add_f32 v[68:69], v[70:71], v[68:69]
	v_pk_fma_f32 v[70:71], v[8:9], s[52:53], v[120:121] neg_lo:[0,0,1] neg_hi:[0,0,1]
	v_mov_b32_e32 v45, v55
	v_mov_b32_e32 v71, v123
	v_pk_add_f32 v[68:69], v[70:71], v[68:69]
	v_pk_fma_f32 v[70:71], v[6:7], s[46:47], v[124:125] neg_lo:[0,0,1] neg_hi:[0,0,1]
	s_load_dwordx2 s[60:61], s[60:61], 0x0
	v_mov_b32_e32 v71, v127
	v_pk_add_f32 v[68:69], v[70:71], v[68:69]
	ds_write2_b64 v20, v[66:67], v[68:69] offset0:96 offset1:108
	v_pk_fma_f32 v[66:67], v[16:17], s[38:39], v[80:81] neg_lo:[0,0,1] neg_hi:[0,0,1]
	v_pk_fma_f32 v[68:69], v[14:15], s[18:19], v[86:87] neg_lo:[0,0,1] neg_hi:[0,0,1]
	v_mov_b32_e32 v67, v83
	v_mov_b32_e32 v69, v89
	v_pk_add_f32 v[66:67], v[4:5], v[66:67]
	v_pk_fma_f32 v[16:17], v[16:17], s[56:57], v[18:19] neg_lo:[0,0,1] neg_hi:[0,0,1]
	v_pk_add_f32 v[66:67], v[68:69], v[66:67]
	v_pk_fma_f32 v[68:69], v[12:13], s[62:63], v[90:91] neg_lo:[0,0,1] neg_hi:[0,0,1]
	v_mov_b32_e32 v17, v21
	v_mov_b32_e32 v69, v93
	v_pk_add_f32 v[66:67], v[68:69], v[66:67]
	v_pk_fma_f32 v[68:69], v[10:11], s[34:35], v[94:95] neg_lo:[0,0,1] neg_hi:[0,0,1]
	v_pk_fma_f32 v[14:15], v[14:15], s[24:25], v[22:23] neg_lo:[0,0,1] neg_hi:[0,0,1]
	v_mov_b32_e32 v69, v97
	v_pk_add_f32 v[4:5], v[4:5], v[16:17]
	v_mov_b32_e32 v15, v25
	v_pk_fma_f32 v[12:13], v[12:13], s[38:39], v[26:27] neg_lo:[0,0,1] neg_hi:[0,0,1]
	v_pk_add_f32 v[66:67], v[68:69], v[66:67]
	v_pk_fma_f32 v[68:69], v[8:9], s[24:25], v[98:99] neg_lo:[0,0,1] neg_hi:[0,0,1]
	v_pk_add_f32 v[42:43], v[44:45], v[42:43]
	;; [unrolled: 2-line block ×3, first 2 shown]
	v_mov_b32_e32 v13, v29
	v_pk_fma_f32 v[10:11], v[10:11], s[14:15], v[30:31] neg_lo:[0,0,1] neg_hi:[0,0,1]
	v_mov_b32_e32 v69, v101
	v_mov_b32_e32 v45, v59
	v_pk_add_f32 v[4:5], v[12:13], v[4:5]
	v_mov_b32_e32 v11, v33
	v_pk_fma_f32 v[8:9], v[8:9], s[16:17], v[34:35] neg_lo:[0,0,1] neg_hi:[0,0,1]
	v_pk_add_f32 v[66:67], v[68:69], v[66:67]
	v_pk_fma_f32 v[68:69], v[6:7], s[16:17], v[102:103] neg_lo:[0,0,1] neg_hi:[0,0,1]
	v_pk_add_f32 v[42:43], v[44:45], v[42:43]
	;; [unrolled: 2-line block ×3, first 2 shown]
	v_mov_b32_e32 v9, v37
	v_pk_fma_f32 v[6:7], v[6:7], s[18:19], v[38:39] neg_lo:[0,0,1] neg_hi:[0,0,1]
	v_mov_b32_e32 v69, v105
	v_mov_b32_e32 v45, v63
	v_pk_add_f32 v[4:5], v[8:9], v[4:5]
	v_mov_b32_e32 v7, v41
	v_pk_add_f32 v[66:67], v[68:69], v[66:67]
	v_pk_add_f32 v[42:43], v[44:45], v[42:43]
	;; [unrolled: 1-line block ×3, first 2 shown]
	ds_write2_b64 v20, v[66:67], v[42:43] offset0:120 offset1:132
	ds_write_b64 v20, v[4:5] offset:1152
	s_waitcnt lgkmcnt(0)
	s_barrier
	s_and_saveexec_b64 s[64:65], s[54:55]
	s_cbranch_execz .LBB0_40
; %bb.39:
	v_mul_lo_u16_e32 v4, 20, v1
	v_mov_b32_e32 v5, 13
	v_mul_lo_u16_sdwa v4, v4, v5 dst_sel:DWORD dst_unused:UNUSED_PAD src0_sel:BYTE_1 src1_sel:DWORD
	v_sub_u16_e32 v4, v1, v4
	v_mov_b32_e32 v5, 12
	v_mul_u32_u24_sdwa v5, v4, v5 dst_sel:DWORD dst_unused:UNUSED_PAD src0_sel:BYTE_0 src1_sel:DWORD
	v_lshlrev_b32_e32 v5, 3, v5
	global_load_dwordx4 v[20:23], v5, s[20:21] offset:16
	global_load_dwordx4 v[24:27], v5, s[20:21]
	global_load_dwordx4 v[28:31], v5, s[20:21] offset:48
	global_load_dwordx4 v[32:35], v5, s[20:21] offset:32
	v_mul_lo_u32 v36, s10, v2
	v_mul_i32_i24_e32 v1, 0xfffffb80, v1
	v_lshlrev_b32_e32 v2, 3, v2
	s_mul_i32 s11, s60, s22
	s_movk_i32 s22, 0x1a5
	v_add3_u32 v57, v3, v1, v2
	s_movk_i32 s23, 0xa9
	v_mul_u32_u24_sdwa v0, v0, s22 dst_sel:DWORD dst_unused:UNUSED_PAD src0_sel:WORD_0 src1_sel:DWORD
	v_add_u32_e32 v7, 0x1200, v57
	v_mul_lo_u16_sdwa v6, v0, s23 dst_sel:DWORD dst_unused:UNUSED_PAD src0_sel:WORD_1 src1_sel:DWORD
	v_add_u32_e32 v8, 0x800, v57
	ds_read2_b64 v[0:3], v57 offset1:156
	ds_read2_b64 v[40:43], v7 offset0:48 offset1:204
	ds_read2_b64 v[44:47], v8 offset0:56 offset1:212
	global_load_dwordx4 v[48:51], v5, s[20:21] offset:80
	global_load_dwordx4 v[52:55], v5, s[20:21] offset:64
	v_add_u32_sdwa v37, v4, v6 dst_sel:DWORD dst_unused:UNUSED_PAD src0_sel:BYTE_0 src1_sel:DWORD
	s_add_i32 s11, s11, s9
	v_mul_lo_u32 v4, s8, v37
	v_add_u32_e32 v6, 13, v37
	v_mov_b32_e32 v15, 0
	v_add_u32_e32 v7, 26, v37
	v_add3_u32 v14, v36, v4, s11
	v_mul_lo_u32 v4, s8, v6
	v_add_u32_e32 v8, 39, v37
	v_mul_lo_u32 v5, s8, v7
	v_lshl_add_u64 v[62:63], v[14:15], 3, s[6:7]
	v_add3_u32 v14, v36, v4, s11
	v_add_u32_e32 v9, 52, v37
	v_mul_lo_u32 v6, s8, v8
	v_lshl_add_u64 v[64:65], v[14:15], 3, s[6:7]
	v_add3_u32 v14, v36, v5, s11
	;; [unrolled: 4-line block ×3, first 2 shown]
	v_add_u32_e32 v11, 0x4e, v37
	v_add_u32_e32 v18, 0x8f, v37
	v_mul_lo_u32 v8, s8, v10
	v_lshl_add_u64 v[38:39], v[14:15], 3, s[6:7]
	v_add3_u32 v14, v36, v7, s11
	v_add_u32_e32 v12, 0x5b, v37
	v_add_u32_e32 v13, 0x68, v37
	;; [unrolled: 1-line block ×4, first 2 shown]
	v_mul_lo_u32 v9, s8, v11
	v_mul_lo_u32 v58, s8, v18
	v_lshl_add_u64 v[18:19], v[14:15], 3, s[6:7]
	v_add3_u32 v14, v36, v8, s11
	v_mul_lo_u32 v10, s8, v12
	v_mul_lo_u32 v11, s8, v13
	;; [unrolled: 1-line block ×4, first 2 shown]
	v_lshl_add_u64 v[16:17], v[14:15], 3, s[6:7]
	v_add3_u32 v14, v36, v9, s11
	v_lshl_add_u64 v[4:5], v[14:15], 3, s[6:7]
	v_add3_u32 v14, v36, v10, s11
	;; [unrolled: 2-line block ×5, first 2 shown]
	v_lshl_add_u64 v[12:13], v[14:15], 3, s[6:7]
	s_waitcnt vmcnt(5) lgkmcnt(0)
	v_mul_f32_e32 v66, v21, v47
	v_mul_f32_e32 v14, v21, v46
	s_waitcnt vmcnt(4)
	v_mul_f32_e32 v68, v27, v45
	v_mul_f32_e32 v21, v27, v44
	;; [unrolled: 1-line block ×4, first 2 shown]
	v_fmac_f32_e32 v66, v20, v46
	v_fma_f32 v70, v20, v47, -v14
	v_add_u32_e32 v20, 0x1c00, v57
	v_fmac_f32_e32 v68, v26, v44
	v_fma_f32 v72, v26, v45, -v21
	v_fmac_f32_e32 v56, v24, v2
	v_fma_f32 v74, v24, v3, -v25
	ds_read2_b64 v[24:27], v20 offset0:40 offset1:196
	v_add3_u32 v14, v36, v58, s11
	v_lshl_add_u64 v[2:3], v[14:15], 3, s[6:7]
	v_add_u32_e32 v14, 0x9c, v37
	s_waitcnt vmcnt(2)
	v_mov_b32_e32 v20, v35
	v_mul_lo_u32 v14, s8, v14
	s_waitcnt lgkmcnt(0)
	v_pk_mul_f32 v[20:21], v[24:25], v[20:21] op_sel_hi:[1,0]
	v_add3_u32 v14, v36, v14, s11
	v_pk_fma_f32 v[36:37], v[24:25], v[34:35], v[20:21] op_sel:[0,0,1] op_sel_hi:[1,0,0]
	v_pk_fma_f32 v[44:45], v[24:25], v[34:35], v[20:21] op_sel:[0,0,1] op_sel_hi:[1,0,0] neg_lo:[0,0,1] neg_hi:[0,0,1]
	v_pk_mul_f32 v[20:21], v[26:27], v[28:29] op_sel:[0,1]
	v_mov_b32_e32 v78, v36
	v_pk_fma_f32 v[34:35], v[26:27], v[28:29], v[20:21] op_sel:[0,0,1] op_sel_hi:[1,0,0]
	v_pk_fma_f32 v[28:29], v[26:27], v[28:29], v[20:21] op_sel:[0,0,1] op_sel_hi:[1,0,0] neg_lo:[0,0,1] neg_hi:[0,0,1]
	v_add_u32_e32 v20, 0x2400, v57
	ds_read2_b64 v[24:27], v20 offset0:96 offset1:252
	v_pk_mul_f32 v[20:21], v[42:43], v[32:33] op_sel:[0,1]
	v_add_f32_e32 v77, v74, v1
	v_pk_fma_f32 v[46:47], v[42:43], v[32:33], v[20:21] op_sel:[0,0,1] op_sel_hi:[1,0,0]
	v_pk_fma_f32 v[42:43], v[42:43], v[32:33], v[20:21] op_sel:[0,0,1] op_sel_hi:[1,0,0] neg_lo:[0,0,1] neg_hi:[0,0,1]
	v_mov_b32_e32 v20, v31
	s_waitcnt lgkmcnt(0)
	v_pk_mul_f32 v[20:21], v[24:25], v[20:21] op_sel_hi:[1,0]
	s_waitcnt vmcnt(0)
	v_pk_mul_f32 v[32:33], v[26:27], v[52:53] op_sel:[0,1]
	v_pk_fma_f32 v[58:59], v[24:25], v[30:31], v[20:21] op_sel:[0,0,1] op_sel_hi:[1,0,0]
	v_pk_fma_f32 v[24:25], v[24:25], v[30:31], v[20:21] op_sel:[0,0,1] op_sel_hi:[1,0,0] neg_lo:[0,0,1] neg_hi:[0,0,1]
	v_mov_b32_e32 v20, v23
	v_mov_b32_e32 v21, v22
	v_pk_mul_f32 v[22:23], v[22:23], v[40:41] op_sel_hi:[1,0]
	v_pk_fma_f32 v[90:91], v[26:27], v[52:53], v[32:33] op_sel:[0,0,1] op_sel_hi:[1,0,0]
	v_pk_fma_f32 v[30:31], v[40:41], v[20:21], v[22:23] op_sel:[1,0,0]
	v_pk_fma_f32 v[86:87], v[40:41], v[20:21], v[22:23] op_sel:[1,0,0] neg_lo:[0,0,1] neg_hi:[0,0,1]
	v_add_u32_e32 v20, 0x3000, v57
	ds_read2_b64 v[20:23], v20 offset0:24 offset1:180
	v_pk_fma_f32 v[26:27], v[26:27], v[52:53], v[32:33] op_sel:[0,0,1] op_sel_hi:[1,0,0] neg_lo:[0,0,1] neg_hi:[0,0,1]
	v_mov_b32_e32 v32, v55
	v_add_f32_e32 v76, v56, v0
	v_mov_b32_e32 v80, v34
	s_waitcnt lgkmcnt(0)
	v_pk_mul_f32 v[32:33], v[20:21], v[32:33] op_sel_hi:[1,0]
	v_mov_b32_e32 v81, v29
	v_pk_fma_f32 v[52:53], v[20:21], v[54:55], v[32:33] op_sel:[0,0,1] op_sel_hi:[1,0,0]
	v_pk_fma_f32 v[54:55], v[20:21], v[54:55], v[32:33] op_sel:[0,0,1] op_sel_hi:[1,0,0] neg_lo:[0,0,1] neg_hi:[0,0,1]
	ds_read_b64 v[32:33], v57 offset:14976
	v_pk_mul_f32 v[20:21], v[22:23], v[48:49] op_sel:[0,1]
	v_mov_b32_e32 v83, v43
	v_pk_fma_f32 v[96:97], v[22:23], v[48:49], v[20:21] op_sel:[0,0,1] op_sel_hi:[1,0,0]
	v_pk_fma_f32 v[98:99], v[22:23], v[48:49], v[20:21] op_sel:[0,0,1] op_sel_hi:[1,0,0] neg_lo:[0,0,1] neg_hi:[0,0,1]
	v_mov_b32_e32 v20, v51
	s_waitcnt lgkmcnt(0)
	v_pk_mul_f32 v[20:21], v[32:33], v[20:21] op_sel_hi:[1,0]
	v_pk_add_f32 v[22:23], v[46:47], v[58:59] neg_lo:[0,1] neg_hi:[0,1]
	v_pk_fma_f32 v[102:103], v[32:33], v[50:51], v[20:21] op_sel:[0,0,1] op_sel_hi:[1,0,0]
	v_pk_fma_f32 v[104:105], v[32:33], v[50:51], v[20:21] op_sel:[0,0,1] op_sel_hi:[1,0,0] neg_lo:[0,0,1] neg_hi:[0,0,1]
	v_pk_add_f32 v[32:33], v[36:37], v[34:35]
	v_pk_add_f32 v[20:21], v[36:37], v[34:35] neg_lo:[0,1] neg_hi:[0,1]
	v_pk_add_f32 v[36:37], v[46:47], v[58:59]
	v_mov_b32_e32 v85, v25
	v_mov_b32_e32 v33, v20
	v_pk_add_f32 v[34:35], v[44:45], v[28:29] neg_lo:[0,1] neg_hi:[0,1]
	v_pk_add_f32 v[20:21], v[44:45], v[28:29]
	v_mov_b32_e32 v37, v22
	v_pk_add_f32 v[40:41], v[42:43], v[24:25] neg_lo:[0,1] neg_hi:[0,1]
	v_pk_add_f32 v[22:23], v[42:43], v[24:25]
	v_pk_add_f32 v[42:43], v[30:31], v[90:91]
	v_pk_add_f32 v[24:25], v[30:31], v[90:91] neg_lo:[0,1] neg_hi:[0,1]
	v_pk_add_f32 v[50:51], v[68:69], v[96:97]
	v_pk_add_f32 v[28:29], v[68:69], v[96:97] neg_lo:[0,1] neg_hi:[0,1]
	v_mov_b32_e32 v69, v72
	v_mov_b32_e32 v79, v45
	;; [unrolled: 1-line block ×5, first 2 shown]
	v_pk_add_f32 v[44:45], v[86:87], v[26:27] neg_lo:[0,1] neg_hi:[0,1]
	v_pk_add_f32 v[24:25], v[86:87], v[26:27]
	v_pk_add_f32 v[46:47], v[66:67], v[52:53]
	v_pk_add_f32 v[26:27], v[66:67], v[52:53] neg_lo:[0,1] neg_hi:[0,1]
	v_pk_add_f32 v[68:69], v[76:77], v[68:69]
	v_mov_b32_e32 v67, v70
	v_mov_b32_e32 v88, v30
	;; [unrolled: 1-line block ×3, first 2 shown]
	v_pk_add_f32 v[66:67], v[68:69], v[66:67]
	v_mov_b32_e32 v84, v58
	v_pk_add_f32 v[66:67], v[66:67], v[88:89]
	v_mov_b32_e32 v92, v90
	;; [unrolled: 2-line block ×8, first 2 shown]
	v_mov_b32_e32 v47, v26
	v_pk_add_f32 v[48:49], v[70:71], v[54:55] op_sel:[0,1] neg_lo:[0,1] neg_hi:[0,1]
	v_pk_add_f32 v[26:27], v[70:71], v[54:55] op_sel_hi:[0,1]
	v_pk_add_f32 v[54:55], v[56:57], v[102:103]
	v_pk_add_f32 v[30:31], v[56:57], v[102:103] neg_lo:[0,1] neg_hi:[0,1]
	v_pk_add_f32 v[66:67], v[66:67], v[100:101]
	v_mov_b32_e32 v20, v35
	v_mov_b32_e32 v55, v30
	v_pk_add_f32 v[58:59], v[74:75], v[104:105] op_sel:[0,1] neg_lo:[0,1] neg_hi:[0,1]
	v_pk_add_f32 v[30:31], v[74:75], v[104:105] op_sel_hi:[0,1]
	v_pk_mul_f32 v[74:75], v[32:33], s[18:19]
	v_pk_add_f32 v[66:67], v[66:67], v[106:107]
	v_mov_b32_e32 v22, v41
	v_pk_fma_f32 v[56:57], v[34:35], s[12:13], v[74:75] op_sel:[1,0,0] neg_lo:[1,0,0] neg_hi:[1,0,0]
	v_pk_fma_f32 v[86:87], v[20:21], s[12:13], v[74:75]
	v_pk_mul_f32 v[90:91], v[36:37], s[16:17]
	global_store_dwordx2 v[62:63], v[66:67], off
	v_pk_fma_f32 v[62:63], v[20:21], s[12:13], v[74:75] neg_lo:[0,0,1] neg_hi:[0,0,1]
	v_mov_b32_e32 v24, v45
	v_mov_b32_e32 v51, v28
	v_pk_add_f32 v[52:53], v[72:73], v[98:99] op_sel:[0,1] neg_lo:[0,1] neg_hi:[0,1]
	v_pk_add_f32 v[28:29], v[72:73], v[98:99] op_sel_hi:[0,1]
	v_mov_b32_e32 v57, v87
	v_pk_fma_f32 v[96:97], v[40:41], s[2:3], v[90:91] op_sel:[1,0,0] neg_lo:[1,0,0] neg_hi:[1,0,0]
	v_pk_fma_f32 v[98:99], v[22:23], s[2:3], v[90:91]
	v_pk_mul_f32 v[102:103], v[42:43], s[14:15]
	v_mov_b32_e32 v87, v63
	v_pk_fma_f32 v[62:63], v[22:23], s[2:3], v[90:91] neg_lo:[0,0,1] neg_hi:[0,0,1]
	v_mov_b32_e32 v26, v48
	v_mov_b32_e32 v97, v99
	v_pk_fma_f32 v[104:105], v[44:45], s[0:1], v[102:103] op_sel:[1,0,0] neg_lo:[1,0,0] neg_hi:[1,0,0]
	v_pk_fma_f32 v[108:109], v[24:25], s[0:1], v[102:103]
	v_pk_mul_f32 v[110:111], v[46:47], s[38:39]
	v_mov_b32_e32 v99, v63
	v_pk_fma_f32 v[62:63], v[24:25], s[0:1], v[102:103] neg_lo:[0,0,1] neg_hi:[0,0,1]
	v_mov_b32_e32 v28, v52
	v_mov_b32_e32 v105, v109
	v_pk_fma_f32 v[112:113], v[48:49], s[30:31], v[110:111] neg_lo:[1,0,0] neg_hi:[1,0,0]
	v_pk_fma_f32 v[114:115], v[26:27], s[30:31], v[110:111]
	v_pk_mul_f32 v[116:117], v[50:51], s[24:25]
	v_mov_b32_e32 v109, v63
	v_pk_fma_f32 v[62:63], v[26:27], s[30:31], v[110:111] neg_lo:[0,0,1] neg_hi:[0,0,1]
	v_mov_b32_e32 v30, v58
	v_mov_b32_e32 v113, v115
	v_pk_fma_f32 v[118:119], v[52:53], s[4:5], v[116:117] neg_lo:[1,0,0] neg_hi:[1,0,0]
	v_pk_fma_f32 v[120:121], v[28:29], s[4:5], v[116:117]
	v_pk_mul_f32 v[122:123], v[54:55], s[56:57]
	v_mov_b32_e32 v115, v63
	v_pk_fma_f32 v[62:63], v[28:29], s[4:5], v[116:117] neg_lo:[0,0,1] neg_hi:[0,0,1]
	v_mov_b32_e32 v119, v121
	v_pk_fma_f32 v[124:125], v[58:59], s[50:51], v[122:123] neg_lo:[1,0,0] neg_hi:[1,0,0]
	v_pk_fma_f32 v[126:127], v[30:31], s[50:51], v[122:123]
	v_mov_b32_e32 v121, v63
	v_pk_fma_f32 v[62:63], v[30:31], s[50:51], v[122:123] neg_lo:[0,0,1] neg_hi:[0,0,1]
	v_mov_b32_e32 v125, v127
	v_mov_b32_e32 v127, v63
	v_pk_add_f32 v[62:63], v[126:127], v[0:1]
	v_pk_add_f32 v[124:125], v[124:125], v[0:1]
	;; [unrolled: 1-line block ×3, first 2 shown]
	v_pk_mul_f32 v[68:69], v[36:37], s[36:37]
	v_pk_add_f32 v[62:63], v[114:115], v[62:63]
	v_pk_add_f32 v[118:119], v[118:119], v[124:125]
	;; [unrolled: 1-line block ×3, first 2 shown]
	v_pk_fma_f32 v[70:71], v[40:41], s[26:27], v[68:69] op_sel:[1,0,0] neg_lo:[1,0,0] neg_hi:[1,0,0]
	v_pk_add_f32 v[62:63], v[98:99], v[62:63]
	v_pk_fma_f32 v[72:73], v[22:23], s[26:27], v[68:69]
	v_pk_add_f32 v[62:63], v[86:87], v[62:63]
	global_store_dwordx2 v[64:65], v[62:63], off
	v_pk_mul_f32 v[64:65], v[32:33], s[34:35]
	v_pk_mul_f32 v[74:75], v[42:43], s[44:45]
	v_pk_fma_f32 v[62:63], v[34:35], s[28:29], v[64:65] op_sel:[1,0,0] neg_lo:[1,0,0] neg_hi:[1,0,0]
	v_pk_fma_f32 v[66:67], v[20:21], s[28:29], v[64:65]
	v_pk_fma_f32 v[64:65], v[20:21], s[28:29], v[64:65] neg_lo:[0,0,1] neg_hi:[0,0,1]
	v_mov_b32_e32 v63, v67
	v_mov_b32_e32 v67, v65
	v_pk_fma_f32 v[64:65], v[22:23], s[26:27], v[68:69] neg_lo:[0,0,1] neg_hi:[0,0,1]
	v_pk_add_f32 v[112:113], v[112:113], v[118:119]
	v_mov_b32_e32 v71, v73
	v_pk_fma_f32 v[76:77], v[44:45], s[42:43], v[74:75] op_sel:[1,0,0] neg_lo:[1,0,0] neg_hi:[1,0,0]
	v_pk_fma_f32 v[78:79], v[24:25], s[42:43], v[74:75]
	v_pk_mul_f32 v[80:81], v[46:47], s[18:19]
	v_mov_b32_e32 v73, v65
	v_pk_fma_f32 v[64:65], v[24:25], s[42:43], v[74:75] neg_lo:[0,0,1] neg_hi:[0,0,1]
	v_pk_add_f32 v[104:105], v[104:105], v[112:113]
	v_mov_b32_e32 v77, v79
	v_pk_fma_f32 v[82:83], v[48:49], s[12:13], v[80:81] neg_lo:[1,0,0] neg_hi:[1,0,0]
	v_pk_fma_f32 v[84:85], v[26:27], s[12:13], v[80:81]
	v_pk_mul_f32 v[86:87], v[50:51], s[14:15]
	v_mov_b32_e32 v79, v65
	v_pk_fma_f32 v[64:65], v[26:27], s[12:13], v[80:81] neg_lo:[0,0,1] neg_hi:[0,0,1]
	v_pk_add_f32 v[96:97], v[96:97], v[104:105]
	v_mov_b32_e32 v83, v85
	v_pk_fma_f32 v[88:89], v[52:53], s[0:1], v[86:87] neg_lo:[1,0,0] neg_hi:[1,0,0]
	;; [unrolled: 7-line block ×3, first 2 shown]
	v_pk_fma_f32 v[96:97], v[30:31], s[4:5], v[92:93]
	v_mov_b32_e32 v91, v65
	v_pk_fma_f32 v[64:65], v[30:31], s[4:5], v[92:93] neg_lo:[0,0,1] neg_hi:[0,0,1]
	v_mov_b32_e32 v95, v97
	v_mov_b32_e32 v97, v65
	v_pk_add_f32 v[64:65], v[96:97], v[0:1]
	v_pk_add_f32 v[94:95], v[94:95], v[0:1]
	v_pk_add_f32 v[64:65], v[90:91], v[64:65]
	v_pk_add_f32 v[88:89], v[88:89], v[94:95]
	v_pk_add_f32 v[64:65], v[84:85], v[64:65]
	v_pk_add_f32 v[82:83], v[82:83], v[88:89]
	v_pk_add_f32 v[64:65], v[78:79], v[64:65]
	v_pk_add_f32 v[76:77], v[76:77], v[82:83]
	v_pk_add_f32 v[64:65], v[72:73], v[64:65]
	v_pk_add_f32 v[70:71], v[70:71], v[76:77]
	v_pk_add_f32 v[64:65], v[66:67], v[64:65]
	global_store_dwordx2 v[60:61], v[64:65], off
	v_pk_mul_f32 v[60:61], v[32:33], s[16:17]
	v_pk_mul_f32 v[68:69], v[36:37], s[24:25]
	v_pk_fma_f32 v[64:65], v[34:35], s[2:3], v[60:61] op_sel:[1,0,0] neg_lo:[1,0,0] neg_hi:[1,0,0]
	v_pk_fma_f32 v[66:67], v[20:21], s[2:3], v[60:61]
	v_pk_fma_f32 v[60:61], v[20:21], s[2:3], v[60:61] neg_lo:[0,0,1] neg_hi:[0,0,1]
	v_pk_add_f32 v[62:63], v[62:63], v[70:71]
	v_mov_b32_e32 v65, v67
	v_pk_fma_f32 v[70:71], v[40:41], s[4:5], v[68:69] op_sel:[1,0,0] neg_lo:[1,0,0] neg_hi:[1,0,0]
	v_pk_fma_f32 v[72:73], v[22:23], s[4:5], v[68:69]
	v_pk_mul_f32 v[74:75], v[42:43], s[34:35]
	v_mov_b32_e32 v67, v61
	v_pk_fma_f32 v[60:61], v[22:23], s[4:5], v[68:69] neg_lo:[0,0,1] neg_hi:[0,0,1]
	v_mov_b32_e32 v71, v73
	v_pk_fma_f32 v[76:77], v[44:45], s[28:29], v[74:75] op_sel:[1,0,0] neg_lo:[1,0,0] neg_hi:[1,0,0]
	v_pk_fma_f32 v[78:79], v[24:25], s[28:29], v[74:75]
	v_pk_mul_f32 v[80:81], v[46:47], s[62:63]
	v_mov_b32_e32 v73, v61
	v_pk_fma_f32 v[60:61], v[24:25], s[28:29], v[74:75] neg_lo:[0,0,1] neg_hi:[0,0,1]
	v_mov_b32_e32 v77, v79
	v_pk_fma_f32 v[82:83], v[48:49], s[58:59], v[80:81] neg_lo:[1,0,0] neg_hi:[1,0,0]
	v_pk_fma_f32 v[84:85], v[26:27], s[58:59], v[80:81]
	v_pk_mul_f32 v[86:87], v[50:51], s[18:19]
	v_mov_b32_e32 v79, v61
	v_pk_fma_f32 v[60:61], v[26:27], s[58:59], v[80:81] neg_lo:[0,0,1] neg_hi:[0,0,1]
	v_mov_b32_e32 v83, v85
	v_pk_fma_f32 v[88:89], v[52:53], s[12:13], v[86:87] neg_lo:[1,0,0] neg_hi:[1,0,0]
	v_pk_fma_f32 v[90:91], v[28:29], s[12:13], v[86:87]
	v_pk_mul_f32 v[92:93], v[54:55], s[38:39]
	v_mov_b32_e32 v85, v61
	v_pk_fma_f32 v[60:61], v[28:29], s[12:13], v[86:87] neg_lo:[0,0,1] neg_hi:[0,0,1]
	v_mov_b32_e32 v89, v91
	v_pk_fma_f32 v[94:95], v[58:59], s[30:31], v[92:93] neg_lo:[1,0,0] neg_hi:[1,0,0]
	v_pk_fma_f32 v[96:97], v[30:31], s[30:31], v[92:93]
	v_mov_b32_e32 v91, v61
	v_pk_fma_f32 v[60:61], v[30:31], s[30:31], v[92:93] neg_lo:[0,0,1] neg_hi:[0,0,1]
	v_mov_b32_e32 v95, v97
	v_mov_b32_e32 v97, v61
	v_pk_add_f32 v[60:61], v[96:97], v[0:1]
	v_pk_add_f32 v[94:95], v[94:95], v[0:1]
	v_pk_add_f32 v[60:61], v[90:91], v[60:61]
	v_pk_add_f32 v[88:89], v[88:89], v[94:95]
	v_pk_add_f32 v[60:61], v[84:85], v[60:61]
	v_pk_add_f32 v[82:83], v[82:83], v[88:89]
	v_pk_add_f32 v[60:61], v[78:79], v[60:61]
	v_pk_add_f32 v[76:77], v[76:77], v[82:83]
	v_pk_add_f32 v[60:61], v[72:73], v[60:61]
	v_pk_add_f32 v[70:71], v[70:71], v[76:77]
	v_pk_add_f32 v[60:61], v[66:67], v[60:61]
	global_store_dwordx2 v[38:39], v[60:61], off
	v_pk_mul_f32 v[38:39], v[32:33], s[46:47]
	v_pk_mul_f32 v[68:69], v[36:37], s[52:53]
	v_pk_fma_f32 v[60:61], v[34:35], s[40:41], v[38:39] op_sel:[1,0,0] neg_lo:[1,0,0] neg_hi:[1,0,0]
	v_pk_fma_f32 v[66:67], v[20:21], s[40:41], v[38:39]
	v_pk_fma_f32 v[38:39], v[20:21], s[40:41], v[38:39] neg_lo:[0,0,1] neg_hi:[0,0,1]
	v_pk_add_f32 v[64:65], v[64:65], v[70:71]
	v_mov_b32_e32 v61, v67
	v_pk_fma_f32 v[70:71], v[40:41], s[48:49], v[68:69] op_sel:[1,0,0] neg_lo:[1,0,0] neg_hi:[1,0,0]
	v_pk_fma_f32 v[72:73], v[22:23], s[48:49], v[68:69]
	v_pk_mul_f32 v[74:75], v[42:43], s[38:39]
	v_mov_b32_e32 v67, v39
	v_pk_fma_f32 v[38:39], v[22:23], s[48:49], v[68:69] neg_lo:[0,0,1] neg_hi:[0,0,1]
	v_mov_b32_e32 v71, v73
	v_pk_fma_f32 v[76:77], v[44:45], s[30:31], v[74:75] op_sel:[1,0,0] neg_lo:[1,0,0] neg_hi:[1,0,0]
	v_pk_fma_f32 v[78:79], v[24:25], s[30:31], v[74:75]
	v_pk_mul_f32 v[80:81], v[46:47], s[34:35]
	v_mov_b32_e32 v73, v39
	v_pk_fma_f32 v[38:39], v[24:25], s[30:31], v[74:75] neg_lo:[0,0,1] neg_hi:[0,0,1]
	v_mov_b32_e32 v77, v79
	v_pk_fma_f32 v[82:83], v[48:49], s[28:29], v[80:81] neg_lo:[1,0,0] neg_hi:[1,0,0]
	v_pk_fma_f32 v[84:85], v[26:27], s[28:29], v[80:81]
	v_pk_mul_f32 v[86:87], v[50:51], s[44:45]
	v_mov_b32_e32 v79, v39
	v_pk_fma_f32 v[38:39], v[26:27], s[28:29], v[80:81] neg_lo:[0,0,1] neg_hi:[0,0,1]
	v_mov_b32_e32 v83, v85
	v_pk_fma_f32 v[88:89], v[52:53], s[42:43], v[86:87] neg_lo:[1,0,0] neg_hi:[1,0,0]
	v_pk_fma_f32 v[90:91], v[28:29], s[42:43], v[86:87]
	v_pk_mul_f32 v[92:93], v[54:55], s[14:15]
	v_mov_b32_e32 v85, v39
	v_pk_fma_f32 v[38:39], v[28:29], s[42:43], v[86:87] neg_lo:[0,0,1] neg_hi:[0,0,1]
	v_mov_b32_e32 v89, v91
	v_pk_fma_f32 v[94:95], v[58:59], s[0:1], v[92:93] neg_lo:[1,0,0] neg_hi:[1,0,0]
	;; [unrolled: 49-line block ×3, first 2 shown]
	v_pk_fma_f32 v[96:97], v[30:31], s[2:3], v[92:93]
	v_mov_b32_e32 v91, v19
	v_pk_fma_f32 v[18:19], v[30:31], s[2:3], v[92:93] neg_lo:[0,0,1] neg_hi:[0,0,1]
	v_mov_b32_e32 v95, v97
	v_mov_b32_e32 v97, v19
	v_pk_add_f32 v[18:19], v[96:97], v[0:1]
	v_pk_add_f32 v[94:95], v[94:95], v[0:1]
	;; [unrolled: 1-line block ×7, first 2 shown]
	v_pk_mul_f32 v[42:43], v[42:43], s[46:47]
	v_pk_add_f32 v[18:19], v[72:73], v[18:19]
	v_pk_add_f32 v[76:77], v[76:77], v[82:83]
	;; [unrolled: 1-line block ×3, first 2 shown]
	global_store_dwordx2 v[16:17], v[18:19], off
	v_pk_mul_f32 v[16:17], v[32:33], s[36:37]
	v_pk_fma_f32 v[44:45], v[44:45], s[40:41], v[42:43] op_sel:[1,0,0] neg_lo:[1,0,0] neg_hi:[1,0,0]
	v_pk_fma_f32 v[18:19], v[34:35], s[26:27], v[16:17] op_sel:[1,0,0] neg_lo:[1,0,0] neg_hi:[1,0,0]
	v_pk_fma_f32 v[32:33], v[20:21], s[26:27], v[16:17]
	v_pk_mul_f32 v[34:35], v[36:37], s[14:15]
	v_pk_fma_f32 v[16:17], v[20:21], s[26:27], v[16:17] neg_lo:[0,0,1] neg_hi:[0,0,1]
	v_mov_b32_e32 v19, v33
	v_pk_fma_f32 v[36:37], v[40:41], s[0:1], v[34:35] op_sel:[1,0,0] neg_lo:[1,0,0] neg_hi:[1,0,0]
	v_pk_fma_f32 v[40:41], v[22:23], s[0:1], v[34:35]
	v_mov_b32_e32 v33, v17
	v_pk_fma_f32 v[16:17], v[22:23], s[0:1], v[34:35] neg_lo:[0,0,1] neg_hi:[0,0,1]
	v_mov_b32_e32 v37, v41
	v_pk_fma_f32 v[66:67], v[24:25], s[40:41], v[42:43]
	v_pk_mul_f32 v[46:47], v[46:47], s[16:17]
	v_mov_b32_e32 v41, v17
	v_pk_fma_f32 v[16:17], v[24:25], s[40:41], v[42:43] neg_lo:[0,0,1] neg_hi:[0,0,1]
	v_pk_add_f32 v[70:71], v[70:71], v[76:77]
	v_mov_b32_e32 v45, v67
	v_pk_fma_f32 v[48:49], v[48:49], s[2:3], v[46:47] neg_lo:[1,0,0] neg_hi:[1,0,0]
	v_pk_fma_f32 v[68:69], v[26:27], s[2:3], v[46:47]
	v_pk_mul_f32 v[50:51], v[50:51], s[34:35]
	v_mov_b32_e32 v67, v17
	v_pk_fma_f32 v[16:17], v[26:27], s[2:3], v[46:47] neg_lo:[0,0,1] neg_hi:[0,0,1]
	v_pk_add_f32 v[38:39], v[38:39], v[70:71]
	v_mov_b32_e32 v49, v69
	v_pk_fma_f32 v[52:53], v[52:53], s[28:29], v[50:51] neg_lo:[1,0,0] neg_hi:[1,0,0]
	v_pk_fma_f32 v[70:71], v[28:29], s[28:29], v[50:51]
	v_pk_mul_f32 v[54:55], v[54:55], s[18:19]
	v_mov_b32_e32 v69, v17
	v_pk_fma_f32 v[16:17], v[28:29], s[28:29], v[50:51] neg_lo:[0,0,1] neg_hi:[0,0,1]
	v_mov_b32_e32 v53, v71
	v_pk_fma_f32 v[58:59], v[58:59], s[12:13], v[54:55] neg_lo:[1,0,0] neg_hi:[1,0,0]
	v_pk_fma_f32 v[72:73], v[30:31], s[12:13], v[54:55]
	v_mov_b32_e32 v71, v17
	v_pk_fma_f32 v[16:17], v[30:31], s[12:13], v[54:55] neg_lo:[0,0,1] neg_hi:[0,0,1]
	v_mov_b32_e32 v59, v73
	v_mov_b32_e32 v73, v17
	v_pk_add_f32 v[58:59], v[58:59], v[0:1]
	v_pk_add_f32 v[0:1], v[72:73], v[0:1]
	;; [unrolled: 1-line block ×10, first 2 shown]
	v_lshl_add_u64 v[14:15], v[14:15], 3, s[6:7]
	v_pk_add_f32 v[0:1], v[32:33], v[0:1]
	v_pk_add_f32 v[18:19], v[18:19], v[36:37]
	global_store_dwordx2 v[4:5], v[0:1], off
	global_store_dwordx2 v[6:7], v[18:19], off
	;; [unrolled: 1-line block ×7, first 2 shown]
.LBB0_40:
	s_endpgm
	.section	.rodata,"a",@progbits
	.p2align	6, 0x0
	.amdhsa_kernel fft_rtc_back_len169_factors_13_13_wgs_156_tpt_13_sp_op_CI_CI_sbcc_dirReg_intrinsicReadWrite
		.amdhsa_group_segment_fixed_size 0
		.amdhsa_private_segment_fixed_size 0
		.amdhsa_kernarg_size 112
		.amdhsa_user_sgpr_count 2
		.amdhsa_user_sgpr_dispatch_ptr 0
		.amdhsa_user_sgpr_queue_ptr 0
		.amdhsa_user_sgpr_kernarg_segment_ptr 1
		.amdhsa_user_sgpr_dispatch_id 0
		.amdhsa_user_sgpr_kernarg_preload_length 0
		.amdhsa_user_sgpr_kernarg_preload_offset 0
		.amdhsa_user_sgpr_private_segment_size 0
		.amdhsa_uses_dynamic_stack 0
		.amdhsa_enable_private_segment 0
		.amdhsa_system_sgpr_workgroup_id_x 1
		.amdhsa_system_sgpr_workgroup_id_y 0
		.amdhsa_system_sgpr_workgroup_id_z 0
		.amdhsa_system_sgpr_workgroup_info 0
		.amdhsa_system_vgpr_workitem_id 0
		.amdhsa_next_free_vgpr 166
		.amdhsa_next_free_sgpr 66
		.amdhsa_accum_offset 168
		.amdhsa_reserve_vcc 1
		.amdhsa_float_round_mode_32 0
		.amdhsa_float_round_mode_16_64 0
		.amdhsa_float_denorm_mode_32 3
		.amdhsa_float_denorm_mode_16_64 3
		.amdhsa_dx10_clamp 1
		.amdhsa_ieee_mode 1
		.amdhsa_fp16_overflow 0
		.amdhsa_tg_split 0
		.amdhsa_exception_fp_ieee_invalid_op 0
		.amdhsa_exception_fp_denorm_src 0
		.amdhsa_exception_fp_ieee_div_zero 0
		.amdhsa_exception_fp_ieee_overflow 0
		.amdhsa_exception_fp_ieee_underflow 0
		.amdhsa_exception_fp_ieee_inexact 0
		.amdhsa_exception_int_div_zero 0
	.end_amdhsa_kernel
	.text
.Lfunc_end0:
	.size	fft_rtc_back_len169_factors_13_13_wgs_156_tpt_13_sp_op_CI_CI_sbcc_dirReg_intrinsicReadWrite, .Lfunc_end0-fft_rtc_back_len169_factors_13_13_wgs_156_tpt_13_sp_op_CI_CI_sbcc_dirReg_intrinsicReadWrite
                                        ; -- End function
	.section	.AMDGPU.csdata,"",@progbits
; Kernel info:
; codeLenInByte = 8652
; NumSgprs: 72
; NumVgprs: 166
; NumAgprs: 0
; TotalNumVgprs: 166
; ScratchSize: 0
; MemoryBound: 0
; FloatMode: 240
; IeeeMode: 1
; LDSByteSize: 0 bytes/workgroup (compile time only)
; SGPRBlocks: 8
; VGPRBlocks: 20
; NumSGPRsForWavesPerEU: 72
; NumVGPRsForWavesPerEU: 166
; AccumOffset: 168
; Occupancy: 3
; WaveLimiterHint : 1
; COMPUTE_PGM_RSRC2:SCRATCH_EN: 0
; COMPUTE_PGM_RSRC2:USER_SGPR: 2
; COMPUTE_PGM_RSRC2:TRAP_HANDLER: 0
; COMPUTE_PGM_RSRC2:TGID_X_EN: 1
; COMPUTE_PGM_RSRC2:TGID_Y_EN: 0
; COMPUTE_PGM_RSRC2:TGID_Z_EN: 0
; COMPUTE_PGM_RSRC2:TIDIG_COMP_CNT: 0
; COMPUTE_PGM_RSRC3_GFX90A:ACCUM_OFFSET: 41
; COMPUTE_PGM_RSRC3_GFX90A:TG_SPLIT: 0
	.text
	.p2alignl 6, 3212836864
	.fill 256, 4, 3212836864
	.type	__hip_cuid_4a147d7cc481e7c0,@object ; @__hip_cuid_4a147d7cc481e7c0
	.section	.bss,"aw",@nobits
	.globl	__hip_cuid_4a147d7cc481e7c0
__hip_cuid_4a147d7cc481e7c0:
	.byte	0                               ; 0x0
	.size	__hip_cuid_4a147d7cc481e7c0, 1

	.ident	"AMD clang version 19.0.0git (https://github.com/RadeonOpenCompute/llvm-project roc-6.4.0 25133 c7fe45cf4b819c5991fe208aaa96edf142730f1d)"
	.section	".note.GNU-stack","",@progbits
	.addrsig
	.addrsig_sym __hip_cuid_4a147d7cc481e7c0
	.amdgpu_metadata
---
amdhsa.kernels:
  - .agpr_count:     0
    .args:
      - .actual_access:  read_only
        .address_space:  global
        .offset:         0
        .size:           8
        .value_kind:     global_buffer
      - .address_space:  global
        .offset:         8
        .size:           8
        .value_kind:     global_buffer
      - .offset:         16
        .size:           8
        .value_kind:     by_value
      - .actual_access:  read_only
        .address_space:  global
        .offset:         24
        .size:           8
        .value_kind:     global_buffer
      - .actual_access:  read_only
        .address_space:  global
        .offset:         32
        .size:           8
        .value_kind:     global_buffer
      - .actual_access:  read_only
        .address_space:  global
        .offset:         40
        .size:           8
        .value_kind:     global_buffer
      - .offset:         48
        .size:           8
        .value_kind:     by_value
      - .actual_access:  read_only
        .address_space:  global
        .offset:         56
        .size:           8
        .value_kind:     global_buffer
      - .actual_access:  read_only
        .address_space:  global
        .offset:         64
        .size:           8
        .value_kind:     global_buffer
      - .offset:         72
        .size:           4
        .value_kind:     by_value
      - .actual_access:  read_only
        .address_space:  global
        .offset:         80
        .size:           8
        .value_kind:     global_buffer
      - .actual_access:  read_only
        .address_space:  global
        .offset:         88
        .size:           8
        .value_kind:     global_buffer
      - .actual_access:  read_only
        .address_space:  global
        .offset:         96
        .size:           8
        .value_kind:     global_buffer
      - .actual_access:  write_only
        .address_space:  global
        .offset:         104
        .size:           8
        .value_kind:     global_buffer
    .group_segment_fixed_size: 0
    .kernarg_segment_align: 8
    .kernarg_segment_size: 112
    .language:       OpenCL C
    .language_version:
      - 2
      - 0
    .max_flat_workgroup_size: 156
    .name:           fft_rtc_back_len169_factors_13_13_wgs_156_tpt_13_sp_op_CI_CI_sbcc_dirReg_intrinsicReadWrite
    .private_segment_fixed_size: 0
    .sgpr_count:     72
    .sgpr_spill_count: 0
    .symbol:         fft_rtc_back_len169_factors_13_13_wgs_156_tpt_13_sp_op_CI_CI_sbcc_dirReg_intrinsicReadWrite.kd
    .uniform_work_group_size: 1
    .uses_dynamic_stack: false
    .vgpr_count:     166
    .vgpr_spill_count: 0
    .wavefront_size: 64
amdhsa.target:   amdgcn-amd-amdhsa--gfx950
amdhsa.version:
  - 1
  - 2
...

	.end_amdgpu_metadata
